;; amdgpu-corpus repo=zjin-lcf/HeCBench kind=compiled arch=gfx1100 opt=O3
	.text
	.amdgcn_target "amdgcn-amd-amdhsa--gfx1100"
	.amdhsa_code_object_version 6
	.protected	_Z12sneaky_snakePKjS0_Piii ; -- Begin function _Z12sneaky_snakePKjS0_Piii
	.globl	_Z12sneaky_snakePKjS0_Piii
	.p2align	8
	.type	_Z12sneaky_snakePKjS0_Piii,@function
_Z12sneaky_snakePKjS0_Piii:             ; @_Z12sneaky_snakePKjS0_Piii
; %bb.0:
	s_clause 0x1
	s_load_b32 s2, s[0:1], 0x2c
	s_load_b64 s[4:5], s[0:1], 0x18
	s_waitcnt lgkmcnt(0)
	s_and_b32 s2, s2, 0xffff
	s_delay_alu instid0(SALU_CYCLE_1) | instskip(SKIP_1) | instid1(VALU_DEP_1)
	v_mad_u64_u32 v[16:17], null, s15, s2, v[0:1]
	s_mov_b32 s2, exec_lo
	v_cmpx_gt_i32_e64 s4, v16
	s_cbranch_execz .LBB0_47
; %bb.1:
	s_load_b128 s[8:11], s[0:1], 0x0
	v_dual_mov_b32 v19, 0 :: v_dual_lshlrev_b32 v0, 3, v16
	s_load_b64 s[0:1], s[0:1], 0x10
	v_ashrrev_i32_e32 v17, 31, v16
	v_dual_mov_b32 v22, 1 :: v_dual_mov_b32 v21, 0
	s_delay_alu instid0(VALU_DEP_3) | instskip(SKIP_1) | instid1(VALU_DEP_4)
	v_ashrrev_i32_e32 v1, 31, v0
	v_mov_b32_e32 v18, 0
	v_lshlrev_b64 v[16:17], 2, v[16:17]
	v_mov_b32_e32 v20, 0
	s_cmp_gt_i32 s5, 0
	v_lshlrev_b64 v[0:1], 2, v[0:1]
	s_cselect_b32 s4, -1, 0
	s_mov_b32 s6, 0
                                        ; implicit-def: $sgpr7
	s_waitcnt lgkmcnt(0)
	s_delay_alu instid0(VALU_DEP_1) | instskip(NEXT) | instid1(VALU_DEP_2)
	v_add_co_u32 v4, vcc_lo, s8, v0
	v_add_co_ci_u32_e32 v5, vcc_lo, s9, v1, vcc_lo
	v_add_co_u32 v12, vcc_lo, s10, v0
	v_add_co_ci_u32_e32 v13, vcc_lo, s11, v1, vcc_lo
	s_clause 0x1
	global_load_b128 v[0:3], v[4:5], off offset:16
	global_load_b128 v[4:7], v[4:5], off
	s_clause 0x1
	global_load_b128 v[8:11], v[12:13], off offset:16
	global_load_b128 v[12:15], v[12:13], off
	v_add_co_u32 v16, vcc_lo, s0, v16
	v_add_co_ci_u32_e32 v17, vcc_lo, s1, v17, vcc_lo
                                        ; implicit-def: $sgpr8
	global_store_b32 v[16:17], v22, off
	s_branch .LBB0_4
.LBB0_2:                                ;   in Loop: Header=BB0_4 Depth=1
	s_or_b32 exec_lo, exec_lo, s9
	s_delay_alu instid0(SALU_CYCLE_1) | instskip(SKIP_1) | instid1(SALU_CYCLE_1)
	s_and_not1_b32 s1, s8, exec_lo
	s_and_b32 s2, s2, exec_lo
	s_or_b32 s8, s1, s2
	s_or_not1_b32 s2, s0, exec_lo
.LBB0_3:                                ;   in Loop: Header=BB0_4 Depth=1
	s_or_b32 exec_lo, exec_lo, s3
	s_delay_alu instid0(SALU_CYCLE_1) | instskip(NEXT) | instid1(SALU_CYCLE_1)
	s_and_b32 s0, exec_lo, s2
	s_or_b32 s6, s0, s6
	s_and_not1_b32 s0, s7, exec_lo
	s_and_b32 s1, s8, exec_lo
	s_delay_alu instid0(SALU_CYCLE_1)
	s_or_b32 s7, s0, s1
	s_and_not1_b32 exec_lo, exec_lo, s6
	s_cbranch_execz .LBB0_45
.LBB0_4:                                ; =>This Loop Header: Depth=1
                                        ;     Child Loop BB0_6 Depth 2
                                        ;       Child Loop BB0_15 Depth 3
                                        ;     Child Loop BB0_22 Depth 2
                                        ;       Child Loop BB0_26 Depth 3
                                        ;       Child Loop BB0_31 Depth 3
	v_cmp_eq_u32_e32 vcc_lo, 1, v18
	v_cmp_eq_u32_e64 s0, 2, v18
	v_cmp_eq_u32_e64 s2, 3, v18
	v_cmp_eq_u32_e64 s3, 6, v18
	v_sub_nc_u32_e32 v28, 32, v19
	s_waitcnt vmcnt(0)
	v_dual_cndmask_b32 v23, v12, v13 :: v_dual_add_nc_u32 v22, 1, v18
	s_delay_alu instid0(VALU_DEP_1) | instskip(NEXT) | instid1(VALU_DEP_2)
	v_cndmask_b32_e64 v23, v23, v14, s0
	v_cmp_eq_u32_e64 s1, 1, v22
	s_delay_alu instid0(VALU_DEP_2) | instskip(NEXT) | instid1(VALU_DEP_2)
	v_cndmask_b32_e64 v23, v23, v15, s2
	v_cndmask_b32_e64 v24, v12, v13, s1
	;; [unrolled: 1-line block ×3, first 2 shown]
	v_cmp_eq_u32_e64 s1, 2, v22
	v_cndmask_b32_e32 v26, v4, v5, vcc_lo
	v_cmp_eq_u32_e32 vcc_lo, 4, v18
	s_delay_alu instid0(VALU_DEP_3)
	v_cndmask_b32_e64 v24, v24, v14, s1
	v_cndmask_b32_e64 v25, v25, v6, s1
	v_cndmask_b32_e32 v23, v23, v8, vcc_lo
	v_cmp_eq_u32_e64 s1, 3, v22
	v_cndmask_b32_e64 v26, v26, v6, s0
	v_cmp_eq_u32_e64 s0, 5, v18
	s_delay_alu instid0(VALU_DEP_3)
	v_cndmask_b32_e64 v24, v24, v15, s1
	v_cndmask_b32_e64 v25, v25, v7, s1
	v_cmp_eq_u32_e64 s1, 4, v22
	v_cndmask_b32_e64 v26, v26, v7, s2
	v_add_nc_u32_e32 v27, -1, v19
	v_cmp_eq_u32_e64 s2, 6, v22
	v_cndmask_b32_e64 v23, v23, v9, s0
	v_cndmask_b32_e64 v24, v24, v8, s1
	v_cndmask_b32_e32 v26, v26, v0, vcc_lo
	v_cndmask_b32_e64 v25, v25, v0, s1
	v_cmp_eq_u32_e64 s1, 5, v22
	v_cmp_gt_u32_e32 vcc_lo, 31, v27
	v_cndmask_b32_e64 v23, v23, v10, s3
	v_cndmask_b32_e64 v26, v26, v1, s0
	v_cmp_eq_u32_e64 s0, 7, v22
	v_cndmask_b32_e64 v24, v24, v9, s1
	v_cndmask_b32_e64 v25, v25, v1, s1
	v_dual_cndmask_b32 v27, 0, v19 :: v_dual_cndmask_b32 v28, 0, v28
	v_cndmask_b32_e64 v26, v26, v2, s3
	s_delay_alu instid0(VALU_DEP_4) | instskip(NEXT) | instid1(VALU_DEP_4)
	v_cndmask_b32_e64 v24, v24, v10, s2
	v_cndmask_b32_e64 v25, v25, v2, s2
	v_cmp_eq_u32_e32 vcc_lo, 7, v18
	s_delay_alu instid0(VALU_DEP_3) | instskip(NEXT) | instid1(VALU_DEP_3)
	v_cndmask_b32_e64 v29, v24, v11, s0
	v_cndmask_b32_e64 v24, v25, v3, s0
	v_cndmask_b32_e32 v23, v23, v11, vcc_lo
	v_cndmask_b32_e32 v25, v26, v3, vcc_lo
	s_and_not1_b32 vcc_lo, exec_lo, s4
	s_delay_alu instid0(VALU_DEP_3) | instskip(SKIP_1) | instid1(VALU_DEP_2)
	v_lshrrev_b32_e32 v26, v28, v24
	v_lshrrev_b32_e32 v28, v28, v29
	v_lshl_or_b32 v29, v25, v27, v26
	s_delay_alu instid0(VALU_DEP_2) | instskip(NEXT) | instid1(VALU_DEP_1)
	v_lshl_or_b32 v26, v23, v27, v28
	v_xor_b32_e32 v23, v29, v26
	s_delay_alu instid0(VALU_DEP_1) | instskip(NEXT) | instid1(VALU_DEP_1)
	v_clz_i32_u32_e32 v23, v23
	v_min_u32_e32 v23, 32, v23
	s_cbranch_vccnz .LBB0_20
; %bb.5:                                ;   in Loop: Header=BB0_4 Depth=1
	v_add_nc_u32_e32 v27, -1, v18
	s_mov_b32 s1, 1
	s_delay_alu instid0(VALU_DEP_1) | instskip(SKIP_3) | instid1(VALU_DEP_3)
	v_cmp_eq_u32_e32 vcc_lo, 1, v27
	v_cndmask_b32_e32 v28, v4, v5, vcc_lo
	v_cmp_eq_u32_e32 vcc_lo, 2, v27
	v_cmp_eq_u32_e64 s0, 7, v27
	v_cndmask_b32_e32 v28, v28, v6, vcc_lo
	v_cmp_eq_u32_e32 vcc_lo, 3, v27
	s_delay_alu instid0(VALU_DEP_2) | instskip(SKIP_1) | instid1(VALU_DEP_2)
	v_cndmask_b32_e32 v28, v28, v7, vcc_lo
	v_cmp_eq_u32_e32 vcc_lo, 4, v27
	v_cndmask_b32_e32 v28, v28, v0, vcc_lo
	v_cmp_eq_u32_e32 vcc_lo, 5, v27
	s_delay_alu instid0(VALU_DEP_2) | instskip(SKIP_1) | instid1(VALU_DEP_2)
	v_cndmask_b32_e32 v28, v28, v1, vcc_lo
	v_cmp_eq_u32_e32 vcc_lo, 6, v27
	v_cndmask_b32_e32 v28, v28, v2, vcc_lo
	v_cmp_eq_u32_e32 vcc_lo, 0, v18
	s_delay_alu instid0(VALU_DEP_2)
	v_cndmask_b32_e64 v27, v28, v3, s0
	s_xor_b32 s0, vcc_lo, -1
.LBB0_6:                                ;   Parent Loop BB0_4 Depth=1
                                        ; =>  This Loop Header: Depth=2
                                        ;       Child Loop BB0_15 Depth 3
	s_lshl_b32 s2, s1, 1
                                        ; implicit-def: $vgpr28
	s_delay_alu instid0(SALU_CYCLE_1) | instskip(SKIP_1) | instid1(SALU_CYCLE_1)
	v_cmp_le_i32_e32 vcc_lo, s2, v19
	s_or_b32 s3, s0, vcc_lo
	s_and_saveexec_b32 s9, s3
	s_delay_alu instid0(SALU_CYCLE_1)
	s_xor_b32 s3, exec_lo, s9
	s_cbranch_execz .LBB0_12
; %bb.7:                                ;   in Loop: Header=BB0_6 Depth=2
	v_subrev_nc_u32_e32 v29, s2, v19
	s_mov_b32 s9, exec_lo
                                        ; implicit-def: $vgpr28
	s_delay_alu instid0(VALU_DEP_1)
	v_cmpx_lt_i32_e32 -1, v29
	s_xor_b32 s9, exec_lo, s9
; %bb.8:                                ;   in Loop: Header=BB0_6 Depth=2
	v_sub_nc_u32_e32 v30, 32, v29
	v_add_nc_u32_e32 v28, -1, v29
	s_delay_alu instid0(VALU_DEP_1) | instskip(NEXT) | instid1(VALU_DEP_3)
	v_cmp_gt_u32_e32 vcc_lo, 31, v28
	v_dual_cndmask_b32 v28, 0, v29 :: v_dual_cndmask_b32 v29, 0, v30
	s_delay_alu instid0(VALU_DEP_1) | instskip(NEXT) | instid1(VALU_DEP_1)
	v_lshrrev_b32_e32 v29, v29, v24
	v_lshl_or_b32 v28, v25, v28, v29
	s_delay_alu instid0(VALU_DEP_1)
	v_xor_b32_e32 v28, v28, v26
; %bb.9:                                ;   in Loop: Header=BB0_6 Depth=2
	s_and_not1_saveexec_b32 s9, s9
; %bb.10:                               ;   in Loop: Header=BB0_6 Depth=2
	v_sub_nc_u32_e32 v28, s2, v19
	s_delay_alu instid0(VALU_DEP_1) | instskip(SKIP_1) | instid1(VALU_DEP_2)
	v_add_nc_u32_e32 v29, -1, v28
	v_sub_nc_u32_e32 v30, 32, v28
	v_cmp_gt_u32_e32 vcc_lo, 31, v29
	s_delay_alu instid0(VALU_DEP_2) | instskip(NEXT) | instid1(VALU_DEP_1)
	v_dual_cndmask_b32 v29, 0, v30 :: v_dual_cndmask_b32 v28, 0, v28
	v_lshrrev_b32_e32 v28, v28, v25
	s_delay_alu instid0(VALU_DEP_1) | instskip(NEXT) | instid1(VALU_DEP_1)
	v_lshl_or_b32 v28, v27, v29, v28
	v_xor_b32_e32 v28, v28, v26
; %bb.11:                               ;   in Loop: Header=BB0_6 Depth=2
	s_or_b32 exec_lo, exec_lo, s9
.LBB0_12:                               ;   in Loop: Header=BB0_6 Depth=2
	s_and_not1_saveexec_b32 s3, s3
	s_cbranch_execz .LBB0_18
; %bb.13:                               ;   in Loop: Header=BB0_6 Depth=2
	v_sub_nc_u32_e32 v28, s2, v19
	v_mov_b32_e32 v29, 0
	s_mov_b32 s9, 0
	s_mov_b32 s2, exec_lo
	s_delay_alu instid0(VALU_DEP_2)
	v_cmpx_lt_i32_e32 0, v28
	s_cbranch_execz .LBB0_17
; %bb.14:                               ;   in Loop: Header=BB0_6 Depth=2
	s_mov_b32 s10, 0
	s_mov_b32 s11, 0
.LBB0_15:                               ;   Parent Loop BB0_4 Depth=1
                                        ;     Parent Loop BB0_6 Depth=2
                                        ; =>    This Inner Loop Header: Depth=3
	s_lshr_b32 s12, 0x80000000, s10
	s_cmp_lt_u32 s10, 31
	s_cselect_b32 s12, s12, 1
	s_add_i32 s10, s10, 1
	s_or_b32 s11, s12, s11
	v_cmp_ge_i32_e32 vcc_lo, s10, v28
	v_mov_b32_e32 v29, s11
	s_or_b32 s9, vcc_lo, s9
	s_delay_alu instid0(SALU_CYCLE_1)
	s_and_not1_b32 exec_lo, exec_lo, s9
	s_cbranch_execnz .LBB0_15
; %bb.16:                               ;   in Loop: Header=BB0_6 Depth=2
	s_or_b32 exec_lo, exec_lo, s9
.LBB0_17:                               ;   in Loop: Header=BB0_6 Depth=2
	s_delay_alu instid0(SALU_CYCLE_1) | instskip(SKIP_1) | instid1(VALU_DEP_1)
	s_or_b32 exec_lo, exec_lo, s2
	v_add_nc_u32_e32 v30, -1, v28
	v_cmp_gt_u32_e32 vcc_lo, 31, v30
	v_cndmask_b32_e32 v28, 0, v28, vcc_lo
	s_delay_alu instid0(VALU_DEP_1) | instskip(NEXT) | instid1(VALU_DEP_1)
	v_lshrrev_b32_e32 v28, v28, v25
	v_xor_b32_e32 v28, v28, v26
	s_delay_alu instid0(VALU_DEP_1)
	v_or_b32_e32 v28, v29, v28
.LBB0_18:                               ;   in Loop: Header=BB0_6 Depth=2
	s_or_b32 exec_lo, exec_lo, s3
	s_delay_alu instid0(VALU_DEP_1) | instskip(SKIP_2) | instid1(VALU_DEP_1)
	v_clz_i32_u32_e32 v28, v28
	s_add_i32 s2, s1, 1
	s_cmp_eq_u32 s1, s5
	v_min_u32_e32 v28, 32, v28
	s_delay_alu instid0(VALU_DEP_1)
	v_max_i32_e32 v23, v28, v23
	s_cbranch_scc1 .LBB0_20
; %bb.19:                               ;   in Loop: Header=BB0_6 Depth=2
	s_mov_b32 s1, s2
	s_branch .LBB0_6
.LBB0_20:                               ;   in Loop: Header=BB0_4 Depth=1
	s_and_not1_b32 vcc_lo, exec_lo, s4
	s_cbranch_vccnz .LBB0_42
; %bb.21:                               ;   in Loop: Header=BB0_4 Depth=1
	v_add_nc_u32_e32 v29, 2, v18
	s_mov_b32 s2, 1
	v_add_nc_u32_e32 v28, 0xffffff58, v21
	s_delay_alu instid0(VALU_DEP_2) | instskip(SKIP_4) | instid1(VALU_DEP_2)
	v_cmp_eq_u32_e32 vcc_lo, 1, v29
	v_cmp_eq_u32_e64 s0, 6, v29
	v_cmp_eq_u32_e64 s1, 7, v29
	v_cndmask_b32_e32 v27, v4, v5, vcc_lo
	v_cmp_eq_u32_e32 vcc_lo, 2, v29
	v_cndmask_b32_e32 v27, v27, v6, vcc_lo
	v_cmp_eq_u32_e32 vcc_lo, 3, v29
	s_delay_alu instid0(VALU_DEP_2) | instskip(SKIP_1) | instid1(VALU_DEP_2)
	v_cndmask_b32_e32 v27, v27, v7, vcc_lo
	v_cmp_eq_u32_e32 vcc_lo, 4, v29
	v_cndmask_b32_e32 v27, v27, v0, vcc_lo
	v_cmp_eq_u32_e32 vcc_lo, 5, v29
	s_delay_alu instid0(VALU_DEP_2) | instskip(SKIP_1) | instid1(VALU_DEP_2)
	v_cndmask_b32_e32 v27, v27, v1, vcc_lo
	v_cmp_lt_i32_e32 vcc_lo, 4, v18
	v_cndmask_b32_e64 v30, v27, v2, s0
	v_cmp_gt_i32_e64 s0, 0xa9, v21
	v_add_nc_u32_e32 v27, 32, v21
	s_delay_alu instid0(VALU_DEP_3)
	v_cndmask_b32_e64 v29, v30, v3, s1
	v_add_nc_u32_e32 v30, 0xffffff57, v21
.LBB0_22:                               ;   Parent Loop BB0_4 Depth=1
                                        ; =>  This Loop Header: Depth=2
                                        ;       Child Loop BB0_26 Depth 3
                                        ;       Child Loop BB0_31 Depth 3
	s_lshl_b32 s9, s2, 1
                                        ; implicit-def: $vgpr32
	s_delay_alu instid0(SALU_CYCLE_1) | instskip(SKIP_1) | instid1(SALU_CYCLE_1)
	v_add_nc_u32_e32 v31, s9, v19
	s_and_saveexec_b32 s1, vcc_lo
	s_xor_b32 s3, exec_lo, s1
	s_cbranch_execz .LBB0_34
; %bb.23:                               ;   in Loop: Header=BB0_22 Depth=2
                                        ; implicit-def: $vgpr32
	s_and_saveexec_b32 s1, s0
	s_delay_alu instid0(SALU_CYCLE_1)
	s_xor_b32 s10, exec_lo, s1
	s_cbranch_execz .LBB0_29
; %bb.24:                               ;   in Loop: Header=BB0_22 Depth=2
	v_mov_b32_e32 v32, 0
	s_sub_i32 s1, 0xc8, s9
	s_mov_b32 s11, exec_lo
	v_cmpx_le_i32_e64 s1, v27
	s_cbranch_execz .LBB0_28
; %bb.25:                               ;   in Loop: Header=BB0_22 Depth=2
	s_mov_b32 s1, 0
	s_mov_b32 s12, 0
.LBB0_26:                               ;   Parent Loop BB0_4 Depth=1
                                        ;     Parent Loop BB0_22 Depth=2
                                        ; =>    This Inner Loop Header: Depth=3
	s_add_i32 s13, s1, -1
	s_lshl_b32 s14, 1, s1
	s_cmp_lt_u32 s13, 31
	s_cselect_b32 s13, s14, 1
	s_add_i32 s1, s1, 1
	s_or_b32 s12, s13, s12
	s_cmp_lt_u32 s1, s9
	s_cbranch_scc1 .LBB0_26
; %bb.27:                               ;   in Loop: Header=BB0_22 Depth=2
	v_mov_b32_e32 v32, s12
.LBB0_28:                               ;   in Loop: Header=BB0_22 Depth=2
	s_or_b32 exec_lo, exec_lo, s11
.LBB0_29:                               ;   in Loop: Header=BB0_22 Depth=2
	s_and_not1_saveexec_b32 s10, s10
	s_cbranch_execz .LBB0_33
; %bb.30:                               ;   in Loop: Header=BB0_22 Depth=2
	v_dual_mov_b32 v32, 0 :: v_dual_add_nc_u32 v33, s9, v28
	v_mov_b32_e32 v34, v30
	s_mov_b32 s9, 0
.LBB0_31:                               ;   Parent Loop BB0_4 Depth=1
                                        ;     Parent Loop BB0_22 Depth=2
                                        ; =>    This Inner Loop Header: Depth=3
	s_delay_alu instid0(VALU_DEP_1) | instskip(SKIP_1) | instid1(VALU_DEP_2)
	v_add_nc_u32_e32 v35, 1, v34
	v_cmp_gt_u32_e64 s1, 31, v34
	v_dual_mov_b32 v34, v35 :: v_dual_add_nc_u32 v37, 2, v34
	v_lshlrev_b32_e64 v36, v35, 1
	s_delay_alu instid0(VALU_DEP_1) | instskip(NEXT) | instid1(VALU_DEP_3)
	v_cndmask_b32_e64 v36, 1, v36, s1
	v_cmp_ge_i32_e64 s1, v37, v33
	s_delay_alu instid0(VALU_DEP_2) | instskip(NEXT) | instid1(VALU_DEP_2)
	v_or_b32_e32 v32, v36, v32
	s_or_b32 s9, s1, s9
	s_delay_alu instid0(SALU_CYCLE_1)
	s_and_not1_b32 exec_lo, exec_lo, s9
	s_cbranch_execnz .LBB0_31
; %bb.32:                               ;   in Loop: Header=BB0_22 Depth=2
	s_or_b32 exec_lo, exec_lo, s9
.LBB0_33:                               ;   in Loop: Header=BB0_22 Depth=2
	s_delay_alu instid0(SALU_CYCLE_1) | instskip(SKIP_2) | instid1(VALU_DEP_2)
	s_or_b32 exec_lo, exec_lo, s10
	v_add_nc_u32_e32 v33, -1, v31
	v_sub_nc_u32_e32 v34, 32, v31
	v_cmp_gt_u32_e64 s1, 31, v33
	s_delay_alu instid0(VALU_DEP_1) | instskip(SKIP_1) | instid1(VALU_DEP_2)
	v_cndmask_b32_e64 v33, 0, v34, s1
	v_cndmask_b32_e64 v31, 0, v31, s1
	v_lshrrev_b32_e32 v33, v33, v24
	s_delay_alu instid0(VALU_DEP_1) | instskip(NEXT) | instid1(VALU_DEP_1)
	v_lshl_or_b32 v31, v25, v31, v33
	v_xor_b32_e32 v31, v31, v26
	s_delay_alu instid0(VALU_DEP_1)
	v_or_b32_e32 v32, v32, v31
                                        ; implicit-def: $vgpr31
.LBB0_34:                               ;   in Loop: Header=BB0_22 Depth=2
	s_and_not1_saveexec_b32 s3, s3
	s_cbranch_execz .LBB0_40
; %bb.35:                               ;   in Loop: Header=BB0_22 Depth=2
	s_mov_b32 s9, exec_lo
                                        ; implicit-def: $vgpr32
	v_cmpx_lt_i32_e32 31, v31
	s_xor_b32 s9, exec_lo, s9
; %bb.36:                               ;   in Loop: Header=BB0_22 Depth=2
	v_and_b32_e32 v31, 31, v31
	s_delay_alu instid0(VALU_DEP_1) | instskip(SKIP_2) | instid1(VALU_DEP_1)
	v_sub_nc_u32_e32 v32, 32, v31
	v_add_nc_u32_e32 v33, -1, v31
	v_cmp_ne_u32_e64 s1, 0, v31
	v_cndmask_b32_e64 v32, 0, v32, s1
	s_delay_alu instid0(VALU_DEP_3) | instskip(NEXT) | instid1(VALU_DEP_2)
	v_cmp_gt_u32_e64 s1, 31, v33
	v_lshrrev_b32_e32 v32, v32, v29
	s_delay_alu instid0(VALU_DEP_2) | instskip(NEXT) | instid1(VALU_DEP_1)
	v_cndmask_b32_e64 v31, 0, v31, s1
	v_lshl_or_b32 v31, v24, v31, v32
	s_delay_alu instid0(VALU_DEP_1)
	v_xor_b32_e32 v32, v31, v26
                                        ; implicit-def: $vgpr31
; %bb.37:                               ;   in Loop: Header=BB0_22 Depth=2
	s_and_not1_saveexec_b32 s9, s9
; %bb.38:                               ;   in Loop: Header=BB0_22 Depth=2
	v_add_nc_u32_e32 v32, -1, v31
	v_sub_nc_u32_e32 v33, 32, v31
	s_delay_alu instid0(VALU_DEP_2) | instskip(NEXT) | instid1(VALU_DEP_1)
	v_cmp_gt_u32_e64 s1, 31, v32
	v_cndmask_b32_e64 v32, 0, v33, s1
	v_cndmask_b32_e64 v31, 0, v31, s1
	s_delay_alu instid0(VALU_DEP_2) | instskip(NEXT) | instid1(VALU_DEP_1)
	v_lshrrev_b32_e32 v32, v32, v24
	v_lshl_or_b32 v31, v25, v31, v32
	s_delay_alu instid0(VALU_DEP_1)
	v_xor_b32_e32 v32, v31, v26
; %bb.39:                               ;   in Loop: Header=BB0_22 Depth=2
	s_or_b32 exec_lo, exec_lo, s9
.LBB0_40:                               ;   in Loop: Header=BB0_22 Depth=2
	s_delay_alu instid0(SALU_CYCLE_1) | instskip(NEXT) | instid1(VALU_DEP_1)
	s_or_b32 exec_lo, exec_lo, s3
	v_clz_i32_u32_e32 v31, v32
	s_add_i32 s1, s2, 1
	s_cmp_eq_u32 s2, s5
	s_delay_alu instid0(VALU_DEP_1) | instskip(NEXT) | instid1(VALU_DEP_1)
	v_min_u32_e32 v31, 32, v31
	v_max_i32_e32 v23, v31, v23
	s_cbranch_scc1 .LBB0_42
; %bb.41:                               ;   in Loop: Header=BB0_22 Depth=2
	s_mov_b32 s2, s1
	s_branch .LBB0_22
.LBB0_42:                               ;   in Loop: Header=BB0_4 Depth=1
	v_cmp_ne_u32_e64 s0, 6, v18
	s_delay_alu instid0(VALU_DEP_2) | instskip(SKIP_3) | instid1(VALU_DEP_2)
	v_cmp_gt_u32_e64 s1, 8, v23
	v_cmp_eq_u32_e32 vcc_lo, 6, v18
	s_mov_b32 s2, -1
	s_or_b32 s8, s8, exec_lo
	s_or_b32 s0, s0, s1
	s_delay_alu instid0(SALU_CYCLE_1)
	s_and_saveexec_b32 s3, s0
	s_cbranch_execz .LBB0_3
; %bb.43:                               ;   in Loop: Header=BB0_4 Depth=1
	v_cmp_gt_u32_e64 s0, 32, v23
	v_cmp_gt_i32_e64 s1, 5, v18
	v_cmp_gt_u32_e64 s2, 8, v23
	s_mov_b32 s9, exec_lo
	s_delay_alu instid0(VALU_DEP_2) | instskip(NEXT) | instid1(VALU_DEP_1)
	s_and_b32 s0, s1, s0
	s_and_b32 s1, vcc_lo, s2
	s_mov_b32 s2, 0
	s_or_b32 s0, s0, s1
	s_delay_alu instid0(SALU_CYCLE_1) | instskip(SKIP_1) | instid1(VALU_DEP_1)
	v_cndmask_b32_e64 v24, 0, 1, s0
	s_mov_b32 s0, -1
	v_add_nc_u32_e32 v20, v20, v24
	s_delay_alu instid0(VALU_DEP_1)
	v_cmpx_ge_i32_e64 s5, v20
	s_cbranch_execz .LBB0_2
; %bb.44:                               ;   in Loop: Header=BB0_4 Depth=1
	v_and_b32_e32 v23, 0x7ffffffe, v23
	s_mov_b32 s2, exec_lo
	s_delay_alu instid0(VALU_DEP_1) | instskip(SKIP_2) | instid1(VALU_DEP_2)
	v_add_nc_u32_e32 v24, 2, v23
	v_add_nc_u32_e32 v25, v23, v19
	v_cmp_eq_u32_e32 vcc_lo, 32, v23
	v_cmp_lt_i32_e64 s0, 29, v25
	s_delay_alu instid0(VALU_DEP_4) | instskip(SKIP_1) | instid1(VALU_DEP_3)
	v_cndmask_b32_e64 v23, v24, 32, vcc_lo
	v_add_nc_u32_e32 v24, 2, v25
	v_cndmask_b32_e64 v18, v18, v22, s0
	s_delay_alu instid0(VALU_DEP_3) | instskip(NEXT) | instid1(VALU_DEP_3)
	v_add_nc_u32_e32 v21, v23, v21
	v_and_b32_e32 v22, 31, v24
	s_delay_alu instid0(VALU_DEP_3) | instskip(NEXT) | instid1(VALU_DEP_3)
	v_cmp_lt_i32_e64 s0, 6, v18
	v_cmp_lt_i32_e64 s1, 0xc7, v21
	s_delay_alu instid0(VALU_DEP_3) | instskip(NEXT) | instid1(VALU_DEP_2)
	v_cndmask_b32_e32 v19, v22, v19, vcc_lo
	s_or_b32 s0, s0, s1
	s_delay_alu instid0(SALU_CYCLE_1)
	s_or_not1_b32 s0, s0, exec_lo
	s_branch .LBB0_2
.LBB0_45:
	s_or_b32 exec_lo, exec_lo, s6
	s_xor_b32 s0, s7, -1
	s_delay_alu instid0(SALU_CYCLE_1) | instskip(NEXT) | instid1(SALU_CYCLE_1)
	s_and_saveexec_b32 s1, s0
	s_xor_b32 s1, exec_lo, s1
	s_cbranch_execz .LBB0_47
; %bb.46:
	v_mov_b32_e32 v0, 0
	global_store_b32 v[16:17], v0, off
.LBB0_47:
	s_nop 0
	s_sendmsg sendmsg(MSG_DEALLOC_VGPRS)
	s_endpgm
	.section	.rodata,"a",@progbits
	.p2align	6, 0x0
	.amdhsa_kernel _Z12sneaky_snakePKjS0_Piii
		.amdhsa_group_segment_fixed_size 0
		.amdhsa_private_segment_fixed_size 0
		.amdhsa_kernarg_size 288
		.amdhsa_user_sgpr_count 15
		.amdhsa_user_sgpr_dispatch_ptr 0
		.amdhsa_user_sgpr_queue_ptr 0
		.amdhsa_user_sgpr_kernarg_segment_ptr 1
		.amdhsa_user_sgpr_dispatch_id 0
		.amdhsa_user_sgpr_private_segment_size 0
		.amdhsa_wavefront_size32 1
		.amdhsa_uses_dynamic_stack 0
		.amdhsa_enable_private_segment 0
		.amdhsa_system_sgpr_workgroup_id_x 1
		.amdhsa_system_sgpr_workgroup_id_y 0
		.amdhsa_system_sgpr_workgroup_id_z 0
		.amdhsa_system_sgpr_workgroup_info 0
		.amdhsa_system_vgpr_workitem_id 0
		.amdhsa_next_free_vgpr 38
		.amdhsa_next_free_sgpr 16
		.amdhsa_reserve_vcc 1
		.amdhsa_float_round_mode_32 0
		.amdhsa_float_round_mode_16_64 0
		.amdhsa_float_denorm_mode_32 3
		.amdhsa_float_denorm_mode_16_64 3
		.amdhsa_dx10_clamp 1
		.amdhsa_ieee_mode 1
		.amdhsa_fp16_overflow 0
		.amdhsa_workgroup_processor_mode 1
		.amdhsa_memory_ordered 1
		.amdhsa_forward_progress 0
		.amdhsa_shared_vgpr_count 0
		.amdhsa_exception_fp_ieee_invalid_op 0
		.amdhsa_exception_fp_denorm_src 0
		.amdhsa_exception_fp_ieee_div_zero 0
		.amdhsa_exception_fp_ieee_overflow 0
		.amdhsa_exception_fp_ieee_underflow 0
		.amdhsa_exception_fp_ieee_inexact 0
		.amdhsa_exception_int_div_zero 0
	.end_amdhsa_kernel
	.text
.Lfunc_end0:
	.size	_Z12sneaky_snakePKjS0_Piii, .Lfunc_end0-_Z12sneaky_snakePKjS0_Piii
                                        ; -- End function
	.section	.AMDGPU.csdata,"",@progbits
; Kernel info:
; codeLenInByte = 2084
; NumSgprs: 18
; NumVgprs: 38
; ScratchSize: 0
; MemoryBound: 0
; FloatMode: 240
; IeeeMode: 1
; LDSByteSize: 0 bytes/workgroup (compile time only)
; SGPRBlocks: 2
; VGPRBlocks: 4
; NumSGPRsForWavesPerEU: 18
; NumVGPRsForWavesPerEU: 38
; Occupancy: 16
; WaveLimiterHint : 0
; COMPUTE_PGM_RSRC2:SCRATCH_EN: 0
; COMPUTE_PGM_RSRC2:USER_SGPR: 15
; COMPUTE_PGM_RSRC2:TRAP_HANDLER: 0
; COMPUTE_PGM_RSRC2:TGID_X_EN: 1
; COMPUTE_PGM_RSRC2:TGID_Y_EN: 0
; COMPUTE_PGM_RSRC2:TGID_Z_EN: 0
; COMPUTE_PGM_RSRC2:TIDIG_COMP_CNT: 0
	.text
	.p2alignl 7, 3214868480
	.fill 96, 4, 3214868480
	.type	__hip_cuid_7c5dc27650190e65,@object ; @__hip_cuid_7c5dc27650190e65
	.section	.bss,"aw",@nobits
	.globl	__hip_cuid_7c5dc27650190e65
__hip_cuid_7c5dc27650190e65:
	.byte	0                               ; 0x0
	.size	__hip_cuid_7c5dc27650190e65, 1

	.ident	"AMD clang version 19.0.0git (https://github.com/RadeonOpenCompute/llvm-project roc-6.4.0 25133 c7fe45cf4b819c5991fe208aaa96edf142730f1d)"
	.section	".note.GNU-stack","",@progbits
	.addrsig
	.addrsig_sym __hip_cuid_7c5dc27650190e65
	.amdgpu_metadata
---
amdhsa.kernels:
  - .args:
      - .actual_access:  read_only
        .address_space:  global
        .offset:         0
        .size:           8
        .value_kind:     global_buffer
      - .actual_access:  read_only
        .address_space:  global
        .offset:         8
        .size:           8
        .value_kind:     global_buffer
      - .actual_access:  write_only
        .address_space:  global
        .offset:         16
        .size:           8
        .value_kind:     global_buffer
      - .offset:         24
        .size:           4
        .value_kind:     by_value
      - .offset:         28
        .size:           4
        .value_kind:     by_value
      - .offset:         32
        .size:           4
        .value_kind:     hidden_block_count_x
      - .offset:         36
        .size:           4
        .value_kind:     hidden_block_count_y
      - .offset:         40
        .size:           4
        .value_kind:     hidden_block_count_z
      - .offset:         44
        .size:           2
        .value_kind:     hidden_group_size_x
      - .offset:         46
        .size:           2
        .value_kind:     hidden_group_size_y
      - .offset:         48
        .size:           2
        .value_kind:     hidden_group_size_z
      - .offset:         50
        .size:           2
        .value_kind:     hidden_remainder_x
      - .offset:         52
        .size:           2
        .value_kind:     hidden_remainder_y
      - .offset:         54
        .size:           2
        .value_kind:     hidden_remainder_z
      - .offset:         72
        .size:           8
        .value_kind:     hidden_global_offset_x
      - .offset:         80
        .size:           8
        .value_kind:     hidden_global_offset_y
      - .offset:         88
        .size:           8
        .value_kind:     hidden_global_offset_z
      - .offset:         96
        .size:           2
        .value_kind:     hidden_grid_dims
    .group_segment_fixed_size: 0
    .kernarg_segment_align: 8
    .kernarg_segment_size: 288
    .language:       OpenCL C
    .language_version:
      - 2
      - 0
    .max_flat_workgroup_size: 1024
    .name:           _Z12sneaky_snakePKjS0_Piii
    .private_segment_fixed_size: 0
    .sgpr_count:     18
    .sgpr_spill_count: 0
    .symbol:         _Z12sneaky_snakePKjS0_Piii.kd
    .uniform_work_group_size: 1
    .uses_dynamic_stack: false
    .vgpr_count:     38
    .vgpr_spill_count: 0
    .wavefront_size: 32
    .workgroup_processor_mode: 1
amdhsa.target:   amdgcn-amd-amdhsa--gfx1100
amdhsa.version:
  - 1
  - 2
...

	.end_amdgpu_metadata
